;; amdgpu-corpus repo=ROCm/rocFFT kind=compiled arch=gfx1030 opt=O3
	.text
	.amdgcn_target "amdgcn-amd-amdhsa--gfx1030"
	.amdhsa_code_object_version 6
	.protected	fft_rtc_back_len1296_factors_6_6_6_6_wgs_108_tpt_108_halfLds_sp_op_CI_CI_unitstride_sbrr_dirReg ; -- Begin function fft_rtc_back_len1296_factors_6_6_6_6_wgs_108_tpt_108_halfLds_sp_op_CI_CI_unitstride_sbrr_dirReg
	.globl	fft_rtc_back_len1296_factors_6_6_6_6_wgs_108_tpt_108_halfLds_sp_op_CI_CI_unitstride_sbrr_dirReg
	.p2align	8
	.type	fft_rtc_back_len1296_factors_6_6_6_6_wgs_108_tpt_108_halfLds_sp_op_CI_CI_unitstride_sbrr_dirReg,@function
fft_rtc_back_len1296_factors_6_6_6_6_wgs_108_tpt_108_halfLds_sp_op_CI_CI_unitstride_sbrr_dirReg: ; @fft_rtc_back_len1296_factors_6_6_6_6_wgs_108_tpt_108_halfLds_sp_op_CI_CI_unitstride_sbrr_dirReg
; %bb.0:
	s_clause 0x2
	s_load_dwordx4 s[12:15], s[4:5], 0x0
	s_load_dwordx4 s[8:11], s[4:5], 0x58
	;; [unrolled: 1-line block ×3, first 2 shown]
	v_mul_u32_u24_e32 v1, 0x25f, v0
	v_mov_b32_e32 v7, 0
	v_mov_b32_e32 v5, 0
	;; [unrolled: 1-line block ×3, first 2 shown]
	v_add_nc_u32_sdwa v9, s6, v1 dst_sel:DWORD dst_unused:UNUSED_PAD src0_sel:DWORD src1_sel:WORD_1
	v_mov_b32_e32 v10, v7
	s_waitcnt lgkmcnt(0)
	v_cmp_lt_u64_e64 s0, s[14:15], 2
	s_and_b32 vcc_lo, exec_lo, s0
	s_cbranch_vccnz .LBB0_8
; %bb.1:
	s_load_dwordx2 s[0:1], s[4:5], 0x10
	v_mov_b32_e32 v5, 0
	v_mov_b32_e32 v6, 0
	s_add_u32 s2, s18, 8
	s_addc_u32 s3, s19, 0
	v_mov_b32_e32 v1, v5
	s_add_u32 s6, s16, 8
	v_mov_b32_e32 v2, v6
	s_addc_u32 s7, s17, 0
	s_mov_b64 s[22:23], 1
	s_waitcnt lgkmcnt(0)
	s_add_u32 s20, s0, 8
	s_addc_u32 s21, s1, 0
.LBB0_2:                                ; =>This Inner Loop Header: Depth=1
	s_load_dwordx2 s[24:25], s[20:21], 0x0
                                        ; implicit-def: $vgpr3_vgpr4
	s_mov_b32 s0, exec_lo
	s_waitcnt lgkmcnt(0)
	v_or_b32_e32 v8, s25, v10
	v_cmpx_ne_u64_e32 0, v[7:8]
	s_xor_b32 s1, exec_lo, s0
	s_cbranch_execz .LBB0_4
; %bb.3:                                ;   in Loop: Header=BB0_2 Depth=1
	v_cvt_f32_u32_e32 v3, s24
	v_cvt_f32_u32_e32 v4, s25
	s_sub_u32 s0, 0, s24
	s_subb_u32 s26, 0, s25
	v_fmac_f32_e32 v3, 0x4f800000, v4
	v_rcp_f32_e32 v3, v3
	v_mul_f32_e32 v3, 0x5f7ffffc, v3
	v_mul_f32_e32 v4, 0x2f800000, v3
	v_trunc_f32_e32 v4, v4
	v_fmac_f32_e32 v3, 0xcf800000, v4
	v_cvt_u32_f32_e32 v4, v4
	v_cvt_u32_f32_e32 v3, v3
	v_mul_lo_u32 v8, s0, v4
	v_mul_hi_u32 v11, s0, v3
	v_mul_lo_u32 v12, s26, v3
	v_add_nc_u32_e32 v8, v11, v8
	v_mul_lo_u32 v11, s0, v3
	v_add_nc_u32_e32 v8, v8, v12
	v_mul_hi_u32 v12, v3, v11
	v_mul_lo_u32 v13, v3, v8
	v_mul_hi_u32 v14, v3, v8
	v_mul_hi_u32 v15, v4, v11
	v_mul_lo_u32 v11, v4, v11
	v_mul_hi_u32 v16, v4, v8
	v_mul_lo_u32 v8, v4, v8
	v_add_co_u32 v12, vcc_lo, v12, v13
	v_add_co_ci_u32_e32 v13, vcc_lo, 0, v14, vcc_lo
	v_add_co_u32 v11, vcc_lo, v12, v11
	v_add_co_ci_u32_e32 v11, vcc_lo, v13, v15, vcc_lo
	v_add_co_ci_u32_e32 v12, vcc_lo, 0, v16, vcc_lo
	v_add_co_u32 v8, vcc_lo, v11, v8
	v_add_co_ci_u32_e32 v11, vcc_lo, 0, v12, vcc_lo
	v_add_co_u32 v3, vcc_lo, v3, v8
	v_add_co_ci_u32_e32 v4, vcc_lo, v4, v11, vcc_lo
	v_mul_hi_u32 v8, s0, v3
	v_mul_lo_u32 v12, s26, v3
	v_mul_lo_u32 v11, s0, v4
	v_add_nc_u32_e32 v8, v8, v11
	v_mul_lo_u32 v11, s0, v3
	v_add_nc_u32_e32 v8, v8, v12
	v_mul_hi_u32 v12, v3, v11
	v_mul_lo_u32 v13, v3, v8
	v_mul_hi_u32 v14, v3, v8
	v_mul_hi_u32 v15, v4, v11
	v_mul_lo_u32 v11, v4, v11
	v_mul_hi_u32 v16, v4, v8
	v_mul_lo_u32 v8, v4, v8
	v_add_co_u32 v12, vcc_lo, v12, v13
	v_add_co_ci_u32_e32 v13, vcc_lo, 0, v14, vcc_lo
	v_add_co_u32 v11, vcc_lo, v12, v11
	v_add_co_ci_u32_e32 v11, vcc_lo, v13, v15, vcc_lo
	v_add_co_ci_u32_e32 v12, vcc_lo, 0, v16, vcc_lo
	v_add_co_u32 v8, vcc_lo, v11, v8
	v_add_co_ci_u32_e32 v11, vcc_lo, 0, v12, vcc_lo
	v_add_co_u32 v8, vcc_lo, v3, v8
	v_add_co_ci_u32_e32 v13, vcc_lo, v4, v11, vcc_lo
	v_mul_hi_u32 v15, v9, v8
	v_mad_u64_u32 v[11:12], null, v10, v8, 0
	v_mad_u64_u32 v[3:4], null, v9, v13, 0
	;; [unrolled: 1-line block ×3, first 2 shown]
	v_add_co_u32 v3, vcc_lo, v15, v3
	v_add_co_ci_u32_e32 v4, vcc_lo, 0, v4, vcc_lo
	v_add_co_u32 v3, vcc_lo, v3, v11
	v_add_co_ci_u32_e32 v3, vcc_lo, v4, v12, vcc_lo
	v_add_co_ci_u32_e32 v4, vcc_lo, 0, v14, vcc_lo
	v_add_co_u32 v8, vcc_lo, v3, v13
	v_add_co_ci_u32_e32 v11, vcc_lo, 0, v4, vcc_lo
	v_mul_lo_u32 v12, s25, v8
	v_mad_u64_u32 v[3:4], null, s24, v8, 0
	v_mul_lo_u32 v13, s24, v11
	v_sub_co_u32 v3, vcc_lo, v9, v3
	v_add3_u32 v4, v4, v13, v12
	v_sub_nc_u32_e32 v12, v10, v4
	v_subrev_co_ci_u32_e64 v12, s0, s25, v12, vcc_lo
	v_add_co_u32 v13, s0, v8, 2
	v_add_co_ci_u32_e64 v14, s0, 0, v11, s0
	v_sub_co_u32 v15, s0, v3, s24
	v_sub_co_ci_u32_e32 v4, vcc_lo, v10, v4, vcc_lo
	v_subrev_co_ci_u32_e64 v12, s0, 0, v12, s0
	v_cmp_le_u32_e32 vcc_lo, s24, v15
	v_cmp_eq_u32_e64 s0, s25, v4
	v_cndmask_b32_e64 v15, 0, -1, vcc_lo
	v_cmp_le_u32_e32 vcc_lo, s25, v12
	v_cndmask_b32_e64 v16, 0, -1, vcc_lo
	v_cmp_le_u32_e32 vcc_lo, s24, v3
	;; [unrolled: 2-line block ×3, first 2 shown]
	v_cndmask_b32_e64 v17, 0, -1, vcc_lo
	v_cmp_eq_u32_e32 vcc_lo, s25, v12
	v_cndmask_b32_e64 v3, v17, v3, s0
	v_cndmask_b32_e32 v12, v16, v15, vcc_lo
	v_add_co_u32 v15, vcc_lo, v8, 1
	v_add_co_ci_u32_e32 v16, vcc_lo, 0, v11, vcc_lo
	v_cmp_ne_u32_e32 vcc_lo, 0, v12
	v_cndmask_b32_e32 v4, v16, v14, vcc_lo
	v_cndmask_b32_e32 v12, v15, v13, vcc_lo
	v_cmp_ne_u32_e32 vcc_lo, 0, v3
	v_cndmask_b32_e32 v4, v11, v4, vcc_lo
	v_cndmask_b32_e32 v3, v8, v12, vcc_lo
.LBB0_4:                                ;   in Loop: Header=BB0_2 Depth=1
	s_andn2_saveexec_b32 s0, s1
	s_cbranch_execz .LBB0_6
; %bb.5:                                ;   in Loop: Header=BB0_2 Depth=1
	v_cvt_f32_u32_e32 v3, s24
	s_sub_i32 s1, 0, s24
	v_rcp_iflag_f32_e32 v3, v3
	v_mul_f32_e32 v3, 0x4f7ffffe, v3
	v_cvt_u32_f32_e32 v3, v3
	v_mul_lo_u32 v4, s1, v3
	v_mul_hi_u32 v4, v3, v4
	v_add_nc_u32_e32 v3, v3, v4
	v_mul_hi_u32 v3, v9, v3
	v_mul_lo_u32 v4, v3, s24
	v_add_nc_u32_e32 v8, 1, v3
	v_sub_nc_u32_e32 v4, v9, v4
	v_subrev_nc_u32_e32 v11, s24, v4
	v_cmp_le_u32_e32 vcc_lo, s24, v4
	v_cndmask_b32_e32 v4, v4, v11, vcc_lo
	v_cndmask_b32_e32 v3, v3, v8, vcc_lo
	v_cmp_le_u32_e32 vcc_lo, s24, v4
	v_add_nc_u32_e32 v8, 1, v3
	v_mov_b32_e32 v4, v7
	v_cndmask_b32_e32 v3, v3, v8, vcc_lo
.LBB0_6:                                ;   in Loop: Header=BB0_2 Depth=1
	s_or_b32 exec_lo, exec_lo, s0
	v_mul_lo_u32 v8, v4, s24
	v_mul_lo_u32 v13, v3, s25
	s_load_dwordx2 s[0:1], s[6:7], 0x0
	v_mad_u64_u32 v[11:12], null, v3, s24, 0
	s_load_dwordx2 s[24:25], s[2:3], 0x0
	s_add_u32 s22, s22, 1
	s_addc_u32 s23, s23, 0
	s_add_u32 s2, s2, 8
	s_addc_u32 s3, s3, 0
	s_add_u32 s6, s6, 8
	v_add3_u32 v8, v12, v13, v8
	v_sub_co_u32 v9, vcc_lo, v9, v11
	s_addc_u32 s7, s7, 0
	s_add_u32 s20, s20, 8
	v_sub_co_ci_u32_e32 v8, vcc_lo, v10, v8, vcc_lo
	s_addc_u32 s21, s21, 0
	s_waitcnt lgkmcnt(0)
	v_mul_lo_u32 v10, s0, v8
	v_mul_lo_u32 v11, s1, v9
	v_mad_u64_u32 v[5:6], null, s0, v9, v[5:6]
	v_mul_lo_u32 v8, s24, v8
	v_mul_lo_u32 v12, s25, v9
	v_mad_u64_u32 v[1:2], null, s24, v9, v[1:2]
	v_cmp_ge_u64_e64 s0, s[22:23], s[14:15]
	v_add3_u32 v6, v11, v6, v10
	v_add3_u32 v2, v12, v2, v8
	s_and_b32 vcc_lo, exec_lo, s0
	s_cbranch_vccnz .LBB0_9
; %bb.7:                                ;   in Loop: Header=BB0_2 Depth=1
	v_mov_b32_e32 v10, v4
	v_mov_b32_e32 v9, v3
	s_branch .LBB0_2
.LBB0_8:
	v_mov_b32_e32 v1, v5
	v_mov_b32_e32 v3, v9
	;; [unrolled: 1-line block ×4, first 2 shown]
.LBB0_9:
	s_load_dwordx2 s[0:1], s[4:5], 0x28
	v_mul_hi_u32 v8, 0x25ed098, v0
	s_lshl_b64 s[4:5], s[14:15], 3
                                        ; implicit-def: $vgpr30
	s_add_u32 s2, s18, s4
	s_addc_u32 s3, s19, s5
	s_waitcnt lgkmcnt(0)
	v_cmp_gt_u64_e32 vcc_lo, s[0:1], v[3:4]
	v_cmp_le_u64_e64 s0, s[0:1], v[3:4]
	s_and_saveexec_b32 s1, s0
	s_xor_b32 s0, exec_lo, s1
; %bb.10:
	v_mul_u32_u24_e32 v5, 0x6c, v8
                                        ; implicit-def: $vgpr8
	v_sub_nc_u32_e32 v30, v0, v5
                                        ; implicit-def: $vgpr0
                                        ; implicit-def: $vgpr5_vgpr6
; %bb.11:
	s_or_saveexec_b32 s1, s0
                                        ; implicit-def: $vgpr11
                                        ; implicit-def: $vgpr19
                                        ; implicit-def: $vgpr15
                                        ; implicit-def: $vgpr17
                                        ; implicit-def: $vgpr9
                                        ; implicit-def: $vgpr7
                                        ; implicit-def: $vgpr25
                                        ; implicit-def: $vgpr23
                                        ; implicit-def: $vgpr27
                                        ; implicit-def: $vgpr29
                                        ; implicit-def: $vgpr21
                                        ; implicit-def: $vgpr13
	s_xor_b32 exec_lo, exec_lo, s1
	s_cbranch_execz .LBB0_13
; %bb.12:
	s_add_u32 s4, s16, s4
	s_addc_u32 s5, s17, s5
	v_lshlrev_b64 v[5:6], 3, v[5:6]
	s_load_dwordx2 s[4:5], s[4:5], 0x0
	s_waitcnt lgkmcnt(0)
	v_mul_lo_u32 v7, s5, v3
	v_mul_lo_u32 v11, s4, v4
	v_mad_u64_u32 v[9:10], null, s4, v3, 0
	v_add3_u32 v10, v10, v11, v7
	v_mul_u32_u24_e32 v11, 0x6c, v8
	v_lshlrev_b64 v[7:8], 3, v[9:10]
	v_sub_nc_u32_e32 v30, v0, v11
	v_add_co_u32 v0, s0, s8, v7
	v_add_co_ci_u32_e64 v7, s0, s9, v8, s0
	v_lshlrev_b32_e32 v8, 3, v30
	v_add_co_u32 v0, s0, v0, v5
	v_add_co_ci_u32_e64 v6, s0, v7, v6, s0
	v_add_co_u32 v5, s0, v0, v8
	v_add_co_ci_u32_e64 v6, s0, 0, v6, s0
	;; [unrolled: 2-line block ×6, first 2 shown]
	s_clause 0xb
	global_load_dwordx2 v[12:13], v[5:6], off
	global_load_dwordx2 v[28:29], v[7:8], off offset:1408
	global_load_dwordx2 v[22:23], v[18:19], off offset:768
	;; [unrolled: 1-line block ×11, first 2 shown]
.LBB0_13:
	s_or_b32 exec_lo, exec_lo, s1
	s_waitcnt vmcnt(9)
	v_add_f32_e32 v0, v22, v28
	v_add_f32_e32 v5, v28, v12
	v_sub_f32_e32 v31, v29, v23
	v_sub_f32_e32 v28, v28, v22
	v_add_f32_e32 v32, v23, v29
	v_fmac_f32_e32 v12, -0.5, v0
	v_add_f32_e32 v0, v29, v13
	v_add_f32_e32 v5, v22, v5
	s_waitcnt vmcnt(1)
	v_add_f32_e32 v22, v25, v27
	v_fmac_f32_e32 v13, -0.5, v32
	v_fmamk_f32 v29, v31, 0xbf5db3d7, v12
	v_fmac_f32_e32 v12, 0x3f5db3d7, v31
	v_add_f32_e32 v0, v23, v0
	v_add_f32_e32 v23, v24, v26
	;; [unrolled: 1-line block ×3, first 2 shown]
	v_fmac_f32_e32 v21, -0.5, v22
	v_sub_f32_e32 v22, v26, v24
	v_add_f32_e32 v26, v26, v20
	v_fmac_f32_e32 v20, -0.5, v23
	v_sub_f32_e32 v23, v27, v25
	v_fmamk_f32 v33, v28, 0x3f5db3d7, v13
	v_fmamk_f32 v27, v22, 0x3f5db3d7, v21
	v_fmac_f32_e32 v13, 0xbf5db3d7, v28
	v_fmac_f32_e32 v21, 0xbf5db3d7, v22
	v_add_f32_e32 v24, v24, v26
	v_fmamk_f32 v22, v23, 0xbf5db3d7, v20
	v_mul_f32_e32 v28, 0xbf5db3d7, v27
	v_fmac_f32_e32 v20, 0x3f5db3d7, v23
	v_mul_f32_e32 v32, 0xbf5db3d7, v21
	v_add_f32_e32 v34, v25, v31
	v_mul_f32_e32 v36, -0.5, v21
	v_fmac_f32_e32 v28, 0.5, v22
	v_add_f32_e32 v21, v24, v5
	v_sub_f32_e32 v24, v5, v24
	s_waitcnt vmcnt(0)
	v_add_f32_e32 v5, v18, v16
	v_mul_f32_e32 v35, 0x3f5db3d7, v22
	v_fmac_f32_e32 v32, -0.5, v20
	v_fmac_f32_e32 v36, 0x3f5db3d7, v20
	v_add_f32_e32 v22, v29, v28
	v_add_f32_e32 v25, v34, v0
	v_sub_f32_e32 v31, v29, v28
	v_sub_f32_e32 v28, v0, v34
	v_add_f32_e32 v0, v16, v6
	v_fmac_f32_e32 v6, -0.5, v5
	v_sub_f32_e32 v5, v17, v19
	v_fmac_f32_e32 v35, 0.5, v27
	v_add_f32_e32 v23, v12, v32
	v_add_f32_e32 v27, v13, v36
	v_sub_f32_e32 v32, v12, v32
	v_sub_f32_e32 v34, v13, v36
	v_add_f32_e32 v12, v17, v7
	v_add_f32_e32 v13, v19, v17
	v_fmamk_f32 v17, v5, 0xbf5db3d7, v6
	v_fmac_f32_e32 v6, 0x3f5db3d7, v5
	v_add_f32_e32 v5, v11, v15
	v_add_f32_e32 v19, v19, v12
	v_fmac_f32_e32 v7, -0.5, v13
	v_add_f32_e32 v12, v10, v14
	v_add_f32_e32 v13, v15, v9
	v_fmac_f32_e32 v9, -0.5, v5
	v_sub_f32_e32 v5, v14, v10
	v_add_f32_e32 v14, v14, v8
	v_fmac_f32_e32 v8, -0.5, v12
	v_sub_f32_e32 v12, v15, v11
	v_add_f32_e32 v0, v18, v0
	v_fmamk_f32 v15, v5, 0x3f5db3d7, v9
	v_fmac_f32_e32 v9, 0xbf5db3d7, v5
	v_sub_f32_e32 v16, v16, v18
	v_fmamk_f32 v5, v12, 0xbf5db3d7, v8
	v_fmac_f32_e32 v8, 0x3f5db3d7, v12
	v_add_f32_e32 v18, v10, v14
	v_mul_f32_e32 v29, 0xbf5db3d7, v9
	v_mul_f32_e32 v36, -0.5, v9
	v_add_f32_e32 v26, v33, v35
	v_sub_f32_e32 v33, v33, v35
	v_fmamk_f32 v20, v16, 0x3f5db3d7, v7
	v_fmac_f32_e32 v29, -0.5, v8
	v_fmac_f32_e32 v7, 0xbf5db3d7, v16
	v_mul_f32_e32 v16, 0xbf5db3d7, v15
	v_add_f32_e32 v35, v11, v13
	v_add_f32_e32 v9, v18, v0
	v_fmac_f32_e32 v36, 0x3f5db3d7, v8
	v_add_f32_e32 v11, v6, v29
	v_mul_u32_u24_e32 v8, 6, v30
	v_sub_f32_e32 v12, v0, v18
	v_sub_f32_e32 v18, v6, v29
	v_and_b32_e32 v29, 0xff, v30
	v_fmac_f32_e32 v16, 0.5, v5
	v_lshl_add_u32 v0, v8, 2, 0
	v_mul_f32_e32 v5, 0x3f5db3d7, v5
	s_load_dwordx2 s[0:1], s[2:3], 0x0
	v_mul_lo_u16 v8, 0xab, v29
	v_add_f32_e32 v10, v17, v16
	v_sub_f32_e32 v17, v17, v16
	v_add_nc_u32_e32 v6, 0xa20, v0
	v_fmac_f32_e32 v5, 0.5, v15
	v_lshrrev_b16 v55, 10, v8
	ds_write2_b64 v0, v[21:22], v[23:24] offset1:1
	ds_write_b64 v0, v[31:32] offset:16
	ds_write2_b64 v6, v[9:10], v[11:12] offset1:1
	ds_write_b64 v0, v[17:18] offset:2608
	v_add_f32_e32 v13, v35, v19
	v_mul_lo_u16 v17, v55, 6
	v_add_f32_e32 v14, v20, v5
	v_sub_f32_e32 v16, v19, v35
	v_sub_f32_e32 v19, v20, v5
	v_mad_i32_i24 v5, 0xffffffec, v30, v0
	v_sub_nc_u16 v56, v30, v17
	v_mov_b32_e32 v57, 5
	v_add_f32_e32 v15, v7, v36
	v_sub_f32_e32 v20, v7, v36
	v_add_nc_u32_e32 v8, 0x600, v5
	v_add_nc_u32_e32 v11, 0x800, v5
	;; [unrolled: 1-line block ×3, first 2 shown]
	v_mul_u32_u24_sdwa v17, v56, v57 dst_sel:DWORD dst_unused:UNUSED_PAD src0_sel:BYTE_0 src1_sel:DWORD
	v_add_nc_u32_e32 v7, 0x200, v5
	v_add_nc_u32_e32 v18, 0x1000, v5
	s_waitcnt lgkmcnt(0)
	s_barrier
	buffer_gl0_inv
	ds_read2_b32 v[9:10], v5 offset1:108
	ds_read2_b32 v[35:36], v7 offset0:88 offset1:196
	ds_read2_b32 v[37:38], v8 offset0:48 offset1:156
	;; [unrolled: 1-line block ×5, first 2 shown]
	s_waitcnt lgkmcnt(0)
	s_barrier
	buffer_gl0_inv
	ds_write2_b64 v0, v[25:26], v[27:28] offset1:1
	ds_write_b64 v0, v[33:34] offset:16
	ds_write2_b64 v6, v[13:14], v[15:16] offset1:1
	v_lshlrev_b32_e32 v6, 3, v17
	v_add_nc_u32_e32 v17, 0x6c, v30
	ds_write_b64 v0, v[19:20] offset:2608
	s_waitcnt lgkmcnt(0)
	s_barrier
	buffer_gl0_inv
	s_clause 0x1
	global_load_dwordx4 v[13:16], v6, s[12:13]
	global_load_dwordx4 v[19:22], v6, s[12:13] offset:16
	v_and_b32_e32 v58, 0xff, v17
	global_load_dwordx2 v[27:28], v6, s[12:13] offset:32
	v_mul_lo_u16 v23, 0xab, v58
	v_lshrrev_b16 v59, 10, v23
	v_mul_lo_u16 v23, v59, 6
	v_sub_nc_u16 v60, v17, v23
	v_mul_u32_u24_sdwa v23, v60, v57 dst_sel:DWORD dst_unused:UNUSED_PAD src0_sel:BYTE_0 src1_sel:DWORD
	v_lshlrev_b32_e32 v6, 3, v23
	s_clause 0x2
	global_load_dwordx4 v[23:26], v6, s[12:13]
	global_load_dwordx4 v[31:34], v6, s[12:13] offset:16
	global_load_dwordx2 v[45:46], v6, s[12:13] offset:32
	ds_read2_b32 v[47:48], v7 offset0:88 offset1:196
	ds_read2_b32 v[49:50], v8 offset0:48 offset1:156
	;; [unrolled: 1-line block ×4, first 2 shown]
	s_waitcnt vmcnt(5) lgkmcnt(3)
	v_mul_f32_e32 v6, v47, v14
	v_mul_f32_e32 v14, v35, v14
	s_waitcnt lgkmcnt(2)
	v_mul_f32_e32 v61, v49, v16
	v_mul_f32_e32 v16, v37, v16
	v_fmac_f32_e32 v6, v35, v13
	v_fma_f32 v35, v47, v13, -v14
	s_waitcnt vmcnt(4) lgkmcnt(1)
	v_mul_f32_e32 v47, v51, v20
	v_mul_f32_e32 v13, v39, v20
	s_waitcnt lgkmcnt(0)
	v_mul_f32_e32 v20, v53, v22
	v_mul_f32_e32 v14, v41, v22
	v_fmac_f32_e32 v61, v37, v15
	v_fmac_f32_e32 v47, v39, v19
	v_fma_f32 v19, v51, v19, -v13
	v_fmac_f32_e32 v20, v41, v21
	v_fma_f32 v21, v53, v21, -v14
	ds_read2_b32 v[13:14], v18 offset0:56 offset1:164
	v_fma_f32 v37, v49, v15, -v16
	s_waitcnt vmcnt(3)
	v_mul_f32_e32 v15, v43, v28
	v_mul_lo_u16 v16, v29, 57
	v_mov_b32_e32 v53, 2
	v_sub_f32_e32 v41, v61, v20
	v_lshrrev_b16 v29, 11, v16
	v_mul_lo_u16 v16, v58, 57
	v_mul_lo_u16 v39, v29, 36
	v_sub_nc_u16 v58, v30, v39
	s_waitcnt vmcnt(2)
	v_mul_f32_e32 v39, v50, v26
	s_waitcnt lgkmcnt(0)
	v_mul_f32_e32 v22, v13, v28
	v_fma_f32 v13, v13, v27, -v15
	v_mov_b32_e32 v15, 0x90
	v_mul_f32_e32 v26, v38, v26
	v_fmac_f32_e32 v39, v38, v25
	v_fmac_f32_e32 v22, v43, v27
	v_mul_f32_e32 v27, v48, v24
	v_mul_u32_u24_sdwa v28, v55, v15 dst_sel:DWORD dst_unused:UNUSED_PAD src0_sel:WORD_0 src1_sel:DWORD
	v_mul_u32_u24_sdwa v15, v59, v15 dst_sel:DWORD dst_unused:UNUSED_PAD src0_sel:WORD_0 src1_sel:DWORD
	v_mul_f32_e32 v24, v36, v24
	v_lshrrev_b16 v55, 11, v16
	v_fmac_f32_e32 v27, v36, v23
	v_lshlrev_b32_sdwa v16, v53, v56 dst_sel:DWORD dst_unused:UNUSED_PAD src0_sel:DWORD src1_sel:BYTE_0
	v_lshlrev_b32_sdwa v36, v53, v60 dst_sel:DWORD dst_unused:UNUSED_PAD src0_sel:DWORD src1_sel:BYTE_0
	v_fma_f32 v23, v48, v23, -v24
	v_fma_f32 v25, v50, v25, -v26
	s_waitcnt vmcnt(1)
	v_mul_f32_e32 v26, v52, v32
	v_add3_u32 v43, 0, v28, v16
	v_add3_u32 v48, 0, v15, v36
	ds_read2_b32 v[15:16], v5 offset1:108
	v_mul_u32_u24_sdwa v28, v58, v57 dst_sel:DWORD dst_unused:UNUSED_PAD src0_sel:BYTE_0 src1_sel:DWORD
	s_waitcnt vmcnt(0)
	v_mul_f32_e32 v36, v14, v46
	v_mul_f32_e32 v38, v44, v46
	v_fmac_f32_e32 v26, v40, v31
	v_add_f32_e32 v46, v35, v19
	v_lshlrev_b32_e32 v49, 3, v28
	v_mul_f32_e32 v28, v40, v32
	v_mul_f32_e32 v32, v54, v34
	;; [unrolled: 1-line block ×3, first 2 shown]
	v_fmac_f32_e32 v36, v44, v45
	v_fma_f32 v14, v14, v45, -v38
	v_fma_f32 v28, v52, v31, -v28
	v_sub_f32_e32 v38, v37, v21
	v_fma_f32 v31, v54, v33, -v34
	v_add_f32_e32 v34, v61, v20
	v_add_f32_e32 v44, v47, v22
	v_sub_f32_e32 v45, v19, v13
	v_add_f32_e32 v19, v19, v13
	v_fmac_f32_e32 v32, v42, v33
	s_waitcnt lgkmcnt(0)
	v_add_f32_e32 v40, v15, v37
	v_add_f32_e32 v37, v37, v21
	;; [unrolled: 1-line block ×4, first 2 shown]
	v_sub_f32_e32 v47, v47, v22
	v_fma_f32 v9, -0.5, v34, v9
	v_fma_f32 v15, -0.5, v37, v15
	v_fmac_f32_e32 v6, -0.5, v44
	v_add_f32_e32 v13, v46, v13
	v_fmac_f32_e32 v35, -0.5, v19
	v_sub_f32_e32 v44, v28, v14
	v_add_f32_e32 v46, v23, v28
	v_add_f32_e32 v28, v28, v14
	;; [unrolled: 1-line block ×8, first 2 shown]
	v_sub_f32_e32 v26, v26, v36
	v_fmamk_f32 v50, v38, 0xbf5db3d7, v9
	v_fmac_f32_e32 v9, 0x3f5db3d7, v38
	v_fmamk_f32 v38, v41, 0x3f5db3d7, v15
	v_fmac_f32_e32 v15, 0xbf5db3d7, v41
	;; [unrolled: 2-line block ×4, first 2 shown]
	v_fmac_f32_e32 v23, -0.5, v28
	v_add_f32_e32 v37, v16, v25
	v_sub_f32_e32 v34, v25, v31
	v_add_f32_e32 v25, v25, v31
	v_add_f32_e32 v33, v39, v32
	v_sub_f32_e32 v39, v39, v32
	v_add_f32_e32 v47, v20, v22
	v_sub_f32_e32 v20, v20, v22
	v_add_f32_e32 v19, v19, v32
	v_add_f32_e32 v22, v40, v36
	v_fmac_f32_e32 v27, -0.5, v42
	v_mul_f32_e32 v28, 0xbf5db3d7, v35
	v_mul_f32_e32 v32, -0.5, v35
	v_fmamk_f32 v36, v26, 0x3f5db3d7, v23
	v_add_f32_e32 v51, v21, v13
	v_sub_f32_e32 v13, v21, v13
	v_add_f32_e32 v21, v37, v31
	v_add_f32_e32 v14, v46, v14
	v_fmac_f32_e32 v23, 0xbf5db3d7, v26
	v_fmac_f32_e32 v16, -0.5, v25
	v_mul_f32_e32 v25, 0xbf5db3d7, v45
	v_fmac_f32_e32 v10, -0.5, v33
	v_mul_f32_e32 v31, 0.5, v45
	v_fmamk_f32 v35, v44, 0xbf5db3d7, v27
	v_fmac_f32_e32 v28, -0.5, v6
	v_fmac_f32_e32 v32, 0x3f5db3d7, v6
	v_mul_f32_e32 v6, 0xbf5db3d7, v36
	v_fmac_f32_e32 v27, 0x3f5db3d7, v44
	v_add_f32_e32 v44, v21, v14
	v_sub_f32_e32 v14, v21, v14
	v_mul_f32_e32 v21, 0xbf5db3d7, v23
	v_fmac_f32_e32 v25, 0.5, v41
	v_add_f32_e32 v26, v19, v22
	v_sub_f32_e32 v19, v19, v22
	v_mul_f32_e32 v22, 0.5, v36
	v_mul_f32_e32 v23, -0.5, v23
	v_fmamk_f32 v33, v34, 0xbf5db3d7, v10
	v_fmac_f32_e32 v31, 0x3f5db3d7, v41
	v_fmac_f32_e32 v6, 0.5, v35
	v_fmac_f32_e32 v10, 0x3f5db3d7, v34
	v_fmac_f32_e32 v21, -0.5, v27
	v_mul_lo_u16 v24, v55, 36
	v_add_f32_e32 v36, v50, v25
	v_fmamk_f32 v34, v39, 0x3f5db3d7, v16
	v_add_f32_e32 v37, v9, v28
	v_fmac_f32_e32 v22, 0x3f5db3d7, v35
	v_fmac_f32_e32 v16, 0xbf5db3d7, v39
	v_sub_f32_e32 v25, v50, v25
	v_sub_f32_e32 v9, v9, v28
	v_fmac_f32_e32 v23, 0x3f5db3d7, v27
	v_add_f32_e32 v45, v38, v31
	v_add_f32_e32 v27, v33, v6
	;; [unrolled: 1-line block ×4, first 2 shown]
	v_sub_f32_e32 v6, v33, v6
	s_barrier
	buffer_gl0_inv
	v_sub_f32_e32 v31, v38, v31
	v_sub_f32_e32 v15, v15, v32
	;; [unrolled: 1-line block ×3, first 2 shown]
	ds_write2_b32 v43, v47, v36 offset1:6
	ds_write2_b32 v43, v37, v20 offset0:12 offset1:18
	ds_write2_b32 v43, v25, v9 offset0:24 offset1:30
	ds_write2_b32 v48, v26, v27 offset1:6
	ds_write2_b32 v48, v28, v19 offset0:12 offset1:18
	ds_write2_b32 v48, v6, v10 offset0:24 offset1:30
	v_sub_nc_u16 v6, v17, v24
	v_add_f32_e32 v32, v34, v22
	v_add_f32_e32 v50, v16, v23
	v_sub_f32_e32 v16, v16, v23
	v_sub_f32_e32 v21, v34, v22
	s_waitcnt lgkmcnt(0)
	s_barrier
	buffer_gl0_inv
	ds_read2_b32 v[9:10], v5 offset1:108
	ds_read2_b32 v[27:28], v7 offset0:88 offset1:196
	ds_read2_b32 v[35:36], v8 offset0:48 offset1:156
	;; [unrolled: 1-line block ×5, first 2 shown]
	s_waitcnt lgkmcnt(0)
	s_barrier
	buffer_gl0_inv
	ds_write2_b32 v43, v51, v45 offset1:6
	ds_write2_b32 v43, v46, v13 offset0:12 offset1:18
	ds_write2_b32 v43, v31, v15 offset0:24 offset1:30
	ds_write2_b32 v48, v44, v32 offset1:6
	ds_write2_b32 v48, v50, v14 offset0:12 offset1:18
	ds_write2_b32 v48, v21, v16 offset0:24 offset1:30
	s_waitcnt lgkmcnt(0)
	s_barrier
	buffer_gl0_inv
	s_clause 0x1
	global_load_dwordx4 v[13:16], v49, s[12:13] offset:240
	global_load_dwordx4 v[19:22], v49, s[12:13] offset:256
	v_mul_u32_u24_sdwa v23, v6, v57 dst_sel:DWORD dst_unused:UNUSED_PAD src0_sel:BYTE_0 src1_sel:DWORD
	global_load_dwordx2 v[43:44], v49, s[12:13] offset:272
	v_mov_b32_e32 v54, 0x360
	v_lshlrev_b32_sdwa v58, v53, v58 dst_sel:DWORD dst_unused:UNUSED_PAD src0_sel:DWORD src1_sel:BYTE_0
	v_lshlrev_b32_sdwa v6, v53, v6 dst_sel:DWORD dst_unused:UNUSED_PAD src0_sel:DWORD src1_sel:BYTE_0
	v_lshlrev_b32_e32 v45, 3, v23
	s_clause 0x2
	global_load_dwordx4 v[23:26], v45, s[12:13] offset:240
	global_load_dwordx4 v[31:34], v45, s[12:13] offset:256
	global_load_dwordx2 v[45:46], v45, s[12:13] offset:272
	ds_read2_b32 v[47:48], v7 offset0:88 offset1:196
	ds_read2_b32 v[49:50], v8 offset0:48 offset1:156
	;; [unrolled: 1-line block ×3, first 2 shown]
	v_mul_u32_u24_sdwa v29, v29, v54 dst_sel:DWORD dst_unused:UNUSED_PAD src0_sel:WORD_0 src1_sel:DWORD
	v_mul_u32_u24_sdwa v57, v55, v54 dst_sel:DWORD dst_unused:UNUSED_PAD src0_sel:WORD_0 src1_sel:DWORD
	ds_read2_b32 v[53:54], v12 offset0:96 offset1:204
	ds_read2_b32 v[55:56], v18 offset0:56 offset1:164
	v_add3_u32 v29, 0, v29, v58
	v_add3_u32 v59, 0, v57, v6
	ds_read2_b32 v[57:58], v5 offset1:108
	s_waitcnt vmcnt(0) lgkmcnt(0)
	s_barrier
	buffer_gl0_inv
	v_mul_f32_e32 v6, v47, v14
	v_mul_f32_e32 v14, v27, v14
	;; [unrolled: 1-line block ×5, first 2 shown]
	v_fmac_f32_e32 v6, v27, v13
	v_fma_f32 v13, v47, v13, -v14
	v_fmac_f32_e32 v60, v35, v15
	v_fma_f32 v14, v49, v15, -v16
	v_mul_f32_e32 v15, v37, v20
	v_mul_f32_e32 v16, v53, v22
	;; [unrolled: 1-line block ×3, first 2 shown]
	v_fmac_f32_e32 v61, v37, v19
	v_mul_f32_e32 v27, v50, v26
	v_fma_f32 v15, v51, v19, -v15
	v_fmac_f32_e32 v16, v39, v21
	v_fma_f32 v19, v53, v21, -v20
	v_mul_f32_e32 v21, v48, v24
	v_mul_f32_e32 v20, v41, v44
	;; [unrolled: 1-line block ×4, first 2 shown]
	v_fmac_f32_e32 v27, v36, v25
	v_fmac_f32_e32 v21, v28, v23
	v_mul_f32_e32 v28, v38, v32
	v_mul_f32_e32 v36, v42, v46
	;; [unrolled: 1-line block ×3, first 2 shown]
	v_fma_f32 v20, v55, v43, -v20
	v_mul_f32_e32 v35, v52, v32
	v_mul_f32_e32 v32, v54, v34
	v_fma_f32 v23, v48, v23, -v24
	v_mul_f32_e32 v24, v40, v34
	v_mul_f32_e32 v34, v56, v46
	v_fma_f32 v25, v50, v25, -v26
	v_fma_f32 v26, v52, v31, -v28
	;; [unrolled: 1-line block ×3, first 2 shown]
	v_fmac_f32_e32 v22, v41, v43
	v_fmac_f32_e32 v35, v38, v31
	;; [unrolled: 1-line block ×3, first 2 shown]
	v_sub_f32_e32 v41, v15, v20
	v_add_f32_e32 v42, v13, v15
	v_add_f32_e32 v15, v15, v20
	v_fma_f32 v24, v54, v33, -v24
	v_sub_f32_e32 v50, v26, v28
	v_add_f32_e32 v51, v23, v26
	v_add_f32_e32 v26, v26, v28
	v_fmac_f32_e32 v32, v40, v33
	v_add_f32_e32 v31, v9, v60
	v_add_f32_e32 v33, v60, v16
	v_sub_f32_e32 v36, v14, v19
	v_add_f32_e32 v37, v57, v14
	v_add_f32_e32 v14, v14, v19
	;; [unrolled: 1-line block ×4, first 2 shown]
	v_sub_f32_e32 v43, v61, v22
	v_add_f32_e32 v44, v10, v27
	v_add_f32_e32 v47, v58, v25
	;; [unrolled: 1-line block ×3, first 2 shown]
	v_fmac_f32_e32 v13, -0.5, v15
	v_sub_f32_e32 v46, v25, v24
	v_add_f32_e32 v25, v25, v24
	v_add_f32_e32 v49, v35, v34
	v_sub_f32_e32 v35, v35, v34
	v_fmac_f32_e32 v23, -0.5, v26
	v_sub_f32_e32 v38, v60, v16
	v_add_f32_e32 v16, v31, v16
	v_fma_f32 v9, -0.5, v33, v9
	v_fma_f32 v31, -0.5, v14, v57
	v_add_f32_e32 v14, v39, v22
	v_fmac_f32_e32 v6, -0.5, v40
	v_add_f32_e32 v15, v44, v32
	v_add_f32_e32 v22, v47, v24
	;; [unrolled: 1-line block ×3, first 2 shown]
	v_fmamk_f32 v33, v43, 0x3f5db3d7, v13
	v_fmac_f32_e32 v13, 0xbf5db3d7, v43
	v_add_f32_e32 v45, v27, v32
	v_sub_f32_e32 v27, v27, v32
	v_add_f32_e32 v19, v37, v19
	v_add_f32_e32 v20, v42, v20
	v_fmac_f32_e32 v58, -0.5, v25
	v_fmac_f32_e32 v21, -0.5, v49
	v_fmamk_f32 v37, v35, 0x3f5db3d7, v23
	v_fmac_f32_e32 v23, 0xbf5db3d7, v35
	v_fmamk_f32 v32, v41, 0xbf5db3d7, v6
	v_add_f32_e32 v35, v15, v24
	v_sub_f32_e32 v15, v15, v24
	v_mul_f32_e32 v24, 0xbf5db3d7, v33
	v_add_f32_e32 v25, v51, v28
	v_fmamk_f32 v28, v38, 0x3f5db3d7, v31
	v_fmac_f32_e32 v31, 0xbf5db3d7, v38
	v_fmac_f32_e32 v6, 0x3f5db3d7, v41
	v_mul_f32_e32 v38, 0xbf5db3d7, v13
	v_fmac_f32_e32 v10, -0.5, v45
	v_fmamk_f32 v26, v36, 0xbf5db3d7, v9
	v_fmac_f32_e32 v9, 0x3f5db3d7, v36
	v_add_f32_e32 v36, v19, v20
	v_sub_f32_e32 v19, v19, v20
	v_fmamk_f32 v20, v27, 0x3f5db3d7, v58
	v_fmac_f32_e32 v58, 0xbf5db3d7, v27
	v_fmamk_f32 v27, v50, 0xbf5db3d7, v21
	v_mul_f32_e32 v33, 0.5, v33
	v_mul_f32_e32 v39, -0.5, v13
	v_mul_f32_e32 v13, 0xbf5db3d7, v37
	v_fmac_f32_e32 v21, 0x3f5db3d7, v50
	v_mul_f32_e32 v40, 0xbf5db3d7, v23
	v_fmac_f32_e32 v24, 0.5, v32
	v_mul_f32_e32 v23, -0.5, v23
	v_fmac_f32_e32 v38, -0.5, v6
	v_add_f32_e32 v34, v16, v14
	v_sub_f32_e32 v14, v16, v14
	v_fmamk_f32 v16, v46, 0xbf5db3d7, v10
	v_mul_f32_e32 v37, 0.5, v37
	v_fmac_f32_e32 v33, 0x3f5db3d7, v32
	v_fmac_f32_e32 v13, 0.5, v27
	v_fmac_f32_e32 v10, 0x3f5db3d7, v46
	v_fmac_f32_e32 v40, -0.5, v21
	v_fmac_f32_e32 v39, 0x3f5db3d7, v6
	v_add_f32_e32 v6, v26, v24
	v_fmac_f32_e32 v23, 0x3f5db3d7, v21
	v_add_f32_e32 v21, v9, v38
	v_sub_f32_e32 v24, v26, v24
	v_sub_f32_e32 v9, v9, v38
	v_fmac_f32_e32 v37, 0x3f5db3d7, v27
	v_add_f32_e32 v27, v28, v33
	v_sub_f32_e32 v26, v28, v33
	v_add_f32_e32 v28, v16, v13
	v_add_f32_e32 v33, v10, v40
	v_sub_f32_e32 v13, v16, v13
	v_sub_f32_e32 v10, v10, v40
	ds_write2_b32 v29, v34, v6 offset1:36
	ds_write2_b32 v29, v21, v14 offset0:72 offset1:108
	ds_write2_b32 v29, v24, v9 offset0:144 offset1:180
	ds_write2_b32 v59, v35, v28 offset1:36
	ds_write2_b32 v59, v33, v15 offset0:72 offset1:108
	ds_write2_b32 v59, v13, v10 offset0:144 offset1:180
	s_waitcnt lgkmcnt(0)
	s_barrier
	buffer_gl0_inv
	ds_read2_b32 v[5:6], v5 offset1:108
	ds_read2_b32 v[9:10], v7 offset0:88 offset1:196
	ds_read2_b32 v[7:8], v8 offset0:48 offset1:156
	;; [unrolled: 1-line block ×5, first 2 shown]
	v_add_f32_e32 v32, v31, v39
	v_sub_f32_e32 v18, v31, v39
	v_add_f32_e32 v21, v22, v25
	v_add_f32_e32 v24, v20, v37
	;; [unrolled: 1-line block ×3, first 2 shown]
	v_sub_f32_e32 v22, v22, v25
	v_sub_f32_e32 v20, v20, v37
	;; [unrolled: 1-line block ×3, first 2 shown]
	s_waitcnt lgkmcnt(0)
	s_barrier
	buffer_gl0_inv
	ds_write2_b32 v29, v36, v27 offset1:36
	ds_write2_b32 v29, v32, v19 offset0:72 offset1:108
	ds_write2_b32 v29, v26, v18 offset0:144 offset1:180
	ds_write2_b32 v59, v21, v24 offset1:36
	ds_write2_b32 v59, v28, v22 offset0:72 offset1:108
	ds_write2_b32 v59, v20, v23 offset0:144 offset1:180
	s_waitcnt lgkmcnt(0)
	s_barrier
	buffer_gl0_inv
	s_and_saveexec_b32 s2, vcc_lo
	s_cbranch_execz .LBB0_15
; %bb.14:
	v_mul_u32_u24_e32 v17, 5, v17
	v_mul_u32_u24_e32 v21, 5, v30
	v_mul_i32_i24_e32 v39, 0xffffffec, v30
	v_mul_lo_u32 v41, s1, v3
	v_mul_lo_u32 v42, s0, v4
	v_lshlrev_b32_e32 v29, 3, v17
	v_lshlrev_b32_e32 v37, 3, v21
	v_mad_u64_u32 v[3:4], null, s0, v3, 0
	v_lshrrev_b32_e32 v43, 3, v30
	s_clause 0x5
	global_load_dwordx4 v[17:20], v29, s[12:13] offset:1696
	global_load_dwordx4 v[21:24], v37, s[12:13] offset:1696
	;; [unrolled: 1-line block ×3, first 2 shown]
	global_load_dwordx2 v[35:36], v29, s[12:13] offset:1712
	global_load_dwordx4 v[31:34], v37, s[12:13] offset:1680
	global_load_dwordx2 v[37:38], v37, s[12:13] offset:1712
	v_add_nc_u32_e32 v29, 0x6c, v30
	v_add_nc_u32_e32 v39, v0, v39
	v_lshlrev_b64 v[0:1], 3, v[1:2]
	v_mul_hi_u32 v2, 0x97b425f, v43
	v_add3_u32 v4, v4, v42, v41
	v_lshrrev_b32_e32 v40, 3, v29
	ds_read2_b32 v[41:42], v39 offset1:108
	v_add_nc_u32_e32 v44, 0x600, v39
	v_add_nc_u32_e32 v45, 0xc00, v39
	;; [unrolled: 1-line block ×3, first 2 shown]
	v_mul_hi_u32 v49, 0x97b425f, v40
	v_add_nc_u32_e32 v51, 0x800, v39
	v_add_nc_u32_e32 v53, 0x1000, v39
	v_mul_lo_u32 v39, 0xd8, v2
	v_lshlrev_b64 v[2:3], 3, v[3:4]
	v_mov_b32_e32 v40, 0
	v_mul_lo_u32 v43, 0xd8, v49
	v_sub_nc_u32_e32 v30, v30, v39
	v_lshlrev_b32_e32 v55, 3, v30
	v_sub_nc_u32_e32 v4, v29, v43
	ds_read2_b32 v[43:44], v44 offset0:48 offset1:156
	ds_read2_b32 v[45:46], v45 offset0:96 offset1:204
	;; [unrolled: 1-line block ×4, first 2 shown]
	v_mad_u64_u32 v[49:50], null, 0x510, v49, v[4:5]
	v_add_co_u32 v4, vcc_lo, s10, v2
	v_add_co_ci_u32_e32 v29, vcc_lo, s11, v3, vcc_lo
	v_mov_b32_e32 v50, v40
	v_add_co_u32 v4, vcc_lo, v4, v0
	v_add_nc_u32_e32 v39, 0xd8, v49
	v_add_co_ci_u32_e32 v54, vcc_lo, v29, v1, vcc_lo
	v_lshlrev_b64 v[2:3], 3, v[49:50]
	v_lshlrev_b64 v[0:1], 3, v[39:40]
	v_add_nc_u32_e32 v39, 0x1b0, v49
	v_add_co_u32 v2, vcc_lo, v4, v2
	v_lshlrev_b64 v[29:30], 3, v[39:40]
	v_add_nc_u32_e32 v39, 0x288, v49
	v_add_co_ci_u32_e32 v3, vcc_lo, v54, v3, vcc_lo
	v_add_co_u32 v0, vcc_lo, v4, v0
	v_add_co_ci_u32_e32 v1, vcc_lo, v54, v1, vcc_lo
	s_waitcnt vmcnt(5)
	v_mul_f32_e32 v57, v16, v17
	v_mul_f32_e32 v16, v16, v18
	;; [unrolled: 1-line block ×3, first 2 shown]
	s_waitcnt lgkmcnt(2)
	v_mul_f32_e32 v56, v46, v20
	s_waitcnt vmcnt(4)
	v_mul_f32_e32 v20, v15, v22
	s_waitcnt lgkmcnt(0)
	v_fmac_f32_e32 v57, v52, v18
	v_fma_f32 v58, v52, v17, -v16
	v_lshlrev_b64 v[16:17], 3, v[39:40]
	v_add_nc_u32_e32 v39, 0x360, v49
	v_add_co_u32 v18, vcc_lo, v4, v29
	v_fma_f32 v46, v46, v19, -v50
	v_fmac_f32_e32 v56, v14, v19
	v_add_co_ci_u32_e32 v19, vcc_lo, v54, v30, vcc_lo
	v_lshlrev_b64 v[29:30], 3, v[39:40]
	v_add_nc_u32_e32 v39, 0x438, v49
	v_add_co_u32 v16, vcc_lo, v4, v16
	v_add_co_ci_u32_e32 v17, vcc_lo, v54, v17, vcc_lo
	v_lshlrev_b64 v[39:40], 3, v[39:40]
	v_add_co_u32 v29, vcc_lo, v4, v29
	v_add_co_ci_u32_e32 v30, vcc_lo, v54, v30, vcc_lo
	ds_read2_b32 v[49:50], v53 offset0:56 offset1:164
	v_add_co_u32 v39, vcc_lo, v4, v39
	v_add_co_ci_u32_e32 v40, vcc_lo, v54, v40, vcc_lo
	v_add_co_u32 v52, vcc_lo, v4, v55
	v_add_co_ci_u32_e32 v53, vcc_lo, 0, v54, vcc_lo
	v_mul_f32_e32 v4, v15, v21
	v_mul_f32_e32 v54, v45, v24
	;; [unrolled: 1-line block ×3, first 2 shown]
	v_fmac_f32_e32 v4, v51, v22
	v_fmac_f32_e32 v54, v13, v23
	v_fma_f32 v13, v51, v21, -v20
	s_waitcnt vmcnt(3)
	v_mul_f32_e32 v22, v8, v28
	v_mul_f32_e32 v28, v44, v28
	;; [unrolled: 1-line block ×4, first 2 shown]
	v_fma_f32 v45, v45, v23, -v14
	v_fma_f32 v22, v44, v27, -v22
	v_fmac_f32_e32 v28, v8, v27
	v_fmac_f32_e32 v51, v48, v26
	v_fma_f32 v10, v48, v25, -v10
	s_waitcnt vmcnt(2)
	v_mul_f32_e32 v25, v12, v35
	v_mul_f32_e32 v8, v12, v36
	s_waitcnt vmcnt(1)
	v_mul_f32_e32 v12, v7, v34
	s_waitcnt vmcnt(0)
	v_mul_f32_e32 v26, v11, v37
	v_mul_f32_e32 v11, v11, v38
	v_mul_f32_e32 v34, v43, v34
	v_mul_f32_e32 v27, v9, v31
	v_mul_f32_e32 v44, v9, v32
	s_waitcnt lgkmcnt(0)
	v_fmac_f32_e32 v25, v50, v36
	v_fma_f32 v35, v50, v35, -v8
	v_fma_f32 v12, v43, v33, -v12
	v_fmac_f32_e32 v34, v7, v33
	v_fma_f32 v7, v49, v37, -v11
	v_fmac_f32_e32 v27, v47, v32
	v_fmac_f32_e32 v26, v49, v38
	v_fma_f32 v11, v47, v31, -v44
	v_add_f32_e32 v31, v22, v46
	v_sub_f32_e32 v32, v28, v56
	v_add_f32_e32 v33, v57, v25
	v_sub_f32_e32 v36, v58, v35
	v_add_f32_e32 v37, v58, v35
	v_add_f32_e32 v43, v42, v22
	;; [unrolled: 1-line block ×8, first 2 shown]
	v_sub_f32_e32 v38, v57, v25
	v_sub_f32_e32 v50, v34, v54
	v_add_f32_e32 v55, v4, v26
	v_sub_f32_e32 v57, v13, v7
	v_sub_f32_e32 v59, v4, v26
	v_fma_f32 v33, -0.5, v33, v51
	v_add_f32_e32 v51, v41, v12
	v_add_f32_e32 v13, v11, v13
	v_fma_f32 v37, -0.5, v37, v10
	v_add_f32_e32 v10, v34, v54
	v_add_f32_e32 v34, v5, v34
	;; [unrolled: 1-line block ×3, first 2 shown]
	v_fma_f32 v31, -0.5, v31, v42
	v_add_f32_e32 v42, v43, v46
	v_fma_f32 v43, -0.5, v47, v6
	v_add_f32_e32 v6, v28, v56
	v_add_f32_e32 v25, v48, v25
	v_fma_f32 v28, -0.5, v49, v41
	v_fma_f32 v41, -0.5, v58, v11
	v_sub_f32_e32 v22, v22, v46
	v_sub_f32_e32 v12, v12, v45
	v_add_f32_e32 v35, v44, v35
	v_fma_f32 v27, -0.5, v55, v27
	v_add_f32_e32 v44, v51, v45
	v_add_f32_e32 v13, v13, v7
	v_fma_f32 v45, -0.5, v10, v5
	v_add_f32_e32 v34, v34, v54
	v_add_f32_e32 v26, v4, v26
	v_fmamk_f32 v48, v38, 0xbf5db3d7, v37
	v_fmac_f32_e32 v37, 0x3f5db3d7, v38
	v_sub_f32_e32 v4, v6, v25
	v_add_f32_e32 v6, v6, v25
	v_fmamk_f32 v25, v59, 0xbf5db3d7, v41
	v_fmac_f32_e32 v41, 0x3f5db3d7, v59
	v_fmamk_f32 v46, v32, 0xbf5db3d7, v31
	v_fmamk_f32 v47, v36, 0x3f5db3d7, v33
	v_fmac_f32_e32 v31, 0x3f5db3d7, v32
	v_fmac_f32_e32 v33, 0xbf5db3d7, v36
	v_sub_f32_e32 v5, v42, v35
	v_fmamk_f32 v32, v22, 0x3f5db3d7, v43
	v_fmac_f32_e32 v43, 0xbf5db3d7, v22
	v_add_f32_e32 v7, v42, v35
	v_fmamk_f32 v22, v57, 0x3f5db3d7, v27
	v_fmac_f32_e32 v27, 0xbf5db3d7, v57
	v_sub_f32_e32 v11, v44, v13
	v_fmamk_f32 v38, v12, 0x3f5db3d7, v45
	v_fmac_f32_e32 v45, 0xbf5db3d7, v12
	v_sub_f32_e32 v10, v34, v26
	v_add_f32_e32 v13, v44, v13
	v_add_f32_e32 v12, v34, v26
	v_mul_f32_e32 v34, 0.5, v37
	v_mul_f32_e32 v36, 0xbf5db3d7, v48
	v_mul_f32_e32 v42, -0.5, v25
	v_mul_f32_e32 v44, 0.5, v41
	v_mul_f32_e32 v41, 0xbf5db3d7, v41
	v_add_co_u32 v14, vcc_lo, 0x800, v52
	v_mul_f32_e32 v26, -0.5, v48
	v_mul_f32_e32 v48, 0xbf5db3d7, v25
	v_add_co_ci_u32_e32 v15, vcc_lo, 0, v53, vcc_lo
	v_add_co_u32 v23, vcc_lo, 0x1000, v52
	v_fmamk_f32 v35, v50, 0xbf5db3d7, v28
	v_fmac_f32_e32 v28, 0x3f5db3d7, v50
	v_mul_f32_e32 v37, 0xbf5db3d7, v37
	v_fmac_f32_e32 v34, 0x3f5db3d7, v33
	v_fmac_f32_e32 v36, -0.5, v47
	v_fmac_f32_e32 v42, 0x3f5db3d7, v22
	v_fmac_f32_e32 v44, 0x3f5db3d7, v27
	v_fmac_f32_e32 v41, 0.5, v27
	v_add_co_ci_u32_e32 v24, vcc_lo, 0, v53, vcc_lo
	v_fmac_f32_e32 v48, -0.5, v22
	v_add_co_u32 v20, vcc_lo, 0x1800, v52
	v_fmac_f32_e32 v26, 0x3f5db3d7, v47
	v_add_co_ci_u32_e32 v21, vcc_lo, 0, v53, vcc_lo
	global_store_dwordx2 v[52:53], v[12:13], off
	global_store_dwordx2 v[23:24], v[10:11], off offset:1088
	v_fmac_f32_e32 v37, 0.5, v33
	v_sub_f32_e32 v13, v31, v34
	v_sub_f32_e32 v10, v32, v36
	v_add_f32_e32 v25, v31, v34
	v_add_f32_e32 v22, v32, v36
	v_sub_f32_e32 v27, v35, v42
	v_add_f32_e32 v34, v35, v42
	v_add_f32_e32 v36, v28, v44
	v_add_f32_e32 v35, v45, v41
	v_add_co_u32 v8, vcc_lo, 0x2000, v52
	v_add_f32_e32 v33, v38, v48
	v_sub_f32_e32 v32, v28, v44
	v_sub_f32_e32 v31, v45, v41
	v_add_co_ci_u32_e32 v9, vcc_lo, 0, v53, vcc_lo
	v_sub_f32_e32 v11, v46, v26
	v_add_f32_e32 v23, v46, v26
	v_sub_f32_e32 v26, v38, v48
	v_sub_f32_e32 v12, v43, v37
	v_add_f32_e32 v24, v43, v37
	global_store_dwordx2 v[52:53], v[35:36], off offset:1728
	global_store_dwordx2 v[14:15], v[33:34], off offset:1408
	global_store_dwordx2 v[20:21], v[31:32], off offset:768
	global_store_dwordx2 v[8:9], v[26:27], off offset:448
	global_store_dwordx2 v[2:3], v[6:7], off
	global_store_dwordx2 v[0:1], v[24:25], off
	global_store_dwordx2 v[18:19], v[22:23], off
	global_store_dwordx2 v[16:17], v[4:5], off
	global_store_dwordx2 v[29:30], v[12:13], off
	global_store_dwordx2 v[39:40], v[10:11], off
.LBB0_15:
	s_endpgm
	.section	.rodata,"a",@progbits
	.p2align	6, 0x0
	.amdhsa_kernel fft_rtc_back_len1296_factors_6_6_6_6_wgs_108_tpt_108_halfLds_sp_op_CI_CI_unitstride_sbrr_dirReg
		.amdhsa_group_segment_fixed_size 0
		.amdhsa_private_segment_fixed_size 0
		.amdhsa_kernarg_size 104
		.amdhsa_user_sgpr_count 6
		.amdhsa_user_sgpr_private_segment_buffer 1
		.amdhsa_user_sgpr_dispatch_ptr 0
		.amdhsa_user_sgpr_queue_ptr 0
		.amdhsa_user_sgpr_kernarg_segment_ptr 1
		.amdhsa_user_sgpr_dispatch_id 0
		.amdhsa_user_sgpr_flat_scratch_init 0
		.amdhsa_user_sgpr_private_segment_size 0
		.amdhsa_wavefront_size32 1
		.amdhsa_uses_dynamic_stack 0
		.amdhsa_system_sgpr_private_segment_wavefront_offset 0
		.amdhsa_system_sgpr_workgroup_id_x 1
		.amdhsa_system_sgpr_workgroup_id_y 0
		.amdhsa_system_sgpr_workgroup_id_z 0
		.amdhsa_system_sgpr_workgroup_info 0
		.amdhsa_system_vgpr_workitem_id 0
		.amdhsa_next_free_vgpr 62
		.amdhsa_next_free_sgpr 27
		.amdhsa_reserve_vcc 1
		.amdhsa_reserve_flat_scratch 0
		.amdhsa_float_round_mode_32 0
		.amdhsa_float_round_mode_16_64 0
		.amdhsa_float_denorm_mode_32 3
		.amdhsa_float_denorm_mode_16_64 3
		.amdhsa_dx10_clamp 1
		.amdhsa_ieee_mode 1
		.amdhsa_fp16_overflow 0
		.amdhsa_workgroup_processor_mode 1
		.amdhsa_memory_ordered 1
		.amdhsa_forward_progress 0
		.amdhsa_shared_vgpr_count 0
		.amdhsa_exception_fp_ieee_invalid_op 0
		.amdhsa_exception_fp_denorm_src 0
		.amdhsa_exception_fp_ieee_div_zero 0
		.amdhsa_exception_fp_ieee_overflow 0
		.amdhsa_exception_fp_ieee_underflow 0
		.amdhsa_exception_fp_ieee_inexact 0
		.amdhsa_exception_int_div_zero 0
	.end_amdhsa_kernel
	.text
.Lfunc_end0:
	.size	fft_rtc_back_len1296_factors_6_6_6_6_wgs_108_tpt_108_halfLds_sp_op_CI_CI_unitstride_sbrr_dirReg, .Lfunc_end0-fft_rtc_back_len1296_factors_6_6_6_6_wgs_108_tpt_108_halfLds_sp_op_CI_CI_unitstride_sbrr_dirReg
                                        ; -- End function
	.section	.AMDGPU.csdata,"",@progbits
; Kernel info:
; codeLenInByte = 6032
; NumSgprs: 29
; NumVgprs: 62
; ScratchSize: 0
; MemoryBound: 0
; FloatMode: 240
; IeeeMode: 1
; LDSByteSize: 0 bytes/workgroup (compile time only)
; SGPRBlocks: 3
; VGPRBlocks: 7
; NumSGPRsForWavesPerEU: 29
; NumVGPRsForWavesPerEU: 62
; Occupancy: 16
; WaveLimiterHint : 1
; COMPUTE_PGM_RSRC2:SCRATCH_EN: 0
; COMPUTE_PGM_RSRC2:USER_SGPR: 6
; COMPUTE_PGM_RSRC2:TRAP_HANDLER: 0
; COMPUTE_PGM_RSRC2:TGID_X_EN: 1
; COMPUTE_PGM_RSRC2:TGID_Y_EN: 0
; COMPUTE_PGM_RSRC2:TGID_Z_EN: 0
; COMPUTE_PGM_RSRC2:TIDIG_COMP_CNT: 0
	.text
	.p2alignl 6, 3214868480
	.fill 48, 4, 3214868480
	.type	__hip_cuid_1f24b4eea8316c3d,@object ; @__hip_cuid_1f24b4eea8316c3d
	.section	.bss,"aw",@nobits
	.globl	__hip_cuid_1f24b4eea8316c3d
__hip_cuid_1f24b4eea8316c3d:
	.byte	0                               ; 0x0
	.size	__hip_cuid_1f24b4eea8316c3d, 1

	.ident	"AMD clang version 19.0.0git (https://github.com/RadeonOpenCompute/llvm-project roc-6.4.0 25133 c7fe45cf4b819c5991fe208aaa96edf142730f1d)"
	.section	".note.GNU-stack","",@progbits
	.addrsig
	.addrsig_sym __hip_cuid_1f24b4eea8316c3d
	.amdgpu_metadata
---
amdhsa.kernels:
  - .args:
      - .actual_access:  read_only
        .address_space:  global
        .offset:         0
        .size:           8
        .value_kind:     global_buffer
      - .offset:         8
        .size:           8
        .value_kind:     by_value
      - .actual_access:  read_only
        .address_space:  global
        .offset:         16
        .size:           8
        .value_kind:     global_buffer
      - .actual_access:  read_only
        .address_space:  global
        .offset:         24
        .size:           8
        .value_kind:     global_buffer
      - .actual_access:  read_only
        .address_space:  global
        .offset:         32
        .size:           8
        .value_kind:     global_buffer
      - .offset:         40
        .size:           8
        .value_kind:     by_value
      - .actual_access:  read_only
        .address_space:  global
        .offset:         48
        .size:           8
        .value_kind:     global_buffer
      - .actual_access:  read_only
        .address_space:  global
        .offset:         56
        .size:           8
        .value_kind:     global_buffer
      - .offset:         64
        .size:           4
        .value_kind:     by_value
      - .actual_access:  read_only
        .address_space:  global
        .offset:         72
        .size:           8
        .value_kind:     global_buffer
      - .actual_access:  read_only
        .address_space:  global
        .offset:         80
        .size:           8
        .value_kind:     global_buffer
      - .actual_access:  read_only
        .address_space:  global
        .offset:         88
        .size:           8
        .value_kind:     global_buffer
      - .actual_access:  write_only
        .address_space:  global
        .offset:         96
        .size:           8
        .value_kind:     global_buffer
    .group_segment_fixed_size: 0
    .kernarg_segment_align: 8
    .kernarg_segment_size: 104
    .language:       OpenCL C
    .language_version:
      - 2
      - 0
    .max_flat_workgroup_size: 108
    .name:           fft_rtc_back_len1296_factors_6_6_6_6_wgs_108_tpt_108_halfLds_sp_op_CI_CI_unitstride_sbrr_dirReg
    .private_segment_fixed_size: 0
    .sgpr_count:     29
    .sgpr_spill_count: 0
    .symbol:         fft_rtc_back_len1296_factors_6_6_6_6_wgs_108_tpt_108_halfLds_sp_op_CI_CI_unitstride_sbrr_dirReg.kd
    .uniform_work_group_size: 1
    .uses_dynamic_stack: false
    .vgpr_count:     62
    .vgpr_spill_count: 0
    .wavefront_size: 32
    .workgroup_processor_mode: 1
amdhsa.target:   amdgcn-amd-amdhsa--gfx1030
amdhsa.version:
  - 1
  - 2
...

	.end_amdgpu_metadata
